;; amdgpu-corpus repo=ROCm/rocFFT kind=compiled arch=gfx1201 opt=O3
	.text
	.amdgcn_target "amdgcn-amd-amdhsa--gfx1201"
	.amdhsa_code_object_version 6
	.protected	fft_rtc_fwd_len108_factors_6_6_3_wgs_576_tpt_36_sp_ip_CI_sbcc_twdbase8_3step_dirReg ; -- Begin function fft_rtc_fwd_len108_factors_6_6_3_wgs_576_tpt_36_sp_ip_CI_sbcc_twdbase8_3step_dirReg
	.globl	fft_rtc_fwd_len108_factors_6_6_3_wgs_576_tpt_36_sp_ip_CI_sbcc_twdbase8_3step_dirReg
	.p2align	8
	.type	fft_rtc_fwd_len108_factors_6_6_3_wgs_576_tpt_36_sp_ip_CI_sbcc_twdbase8_3step_dirReg,@function
fft_rtc_fwd_len108_factors_6_6_3_wgs_576_tpt_36_sp_ip_CI_sbcc_twdbase8_3step_dirReg: ; @fft_rtc_fwd_len108_factors_6_6_3_wgs_576_tpt_36_sp_ip_CI_sbcc_twdbase8_3step_dirReg
; %bb.0:
	s_load_b128 s[12:15], s[0:1], 0x18
	s_mov_b32 s22, ttmp9
	s_mov_b32 s23, 0
	s_mov_b64 s[26:27], 0
	s_wait_kmcnt 0x0
	s_load_b64 s[16:17], s[12:13], 0x8
	s_wait_kmcnt 0x0
	s_add_nc_u64 s[2:3], s[16:17], -1
	s_delay_alu instid0(SALU_CYCLE_1) | instskip(NEXT) | instid1(SALU_CYCLE_1)
	s_lshr_b64 s[2:3], s[2:3], 4
	s_add_nc_u64 s[20:21], s[2:3], 1
	s_delay_alu instid0(SALU_CYCLE_1) | instskip(NEXT) | instid1(VALU_DEP_1)
	v_cmp_lt_u64_e64 s2, s[22:23], s[20:21]
	s_and_b32 vcc_lo, exec_lo, s2
	s_cbranch_vccnz .LBB0_2
; %bb.1:
	v_cvt_f32_u32_e32 v1, s20
	s_sub_co_i32 s3, 0, s20
	s_mov_b32 s27, s23
	s_delay_alu instid0(VALU_DEP_1) | instskip(NEXT) | instid1(TRANS32_DEP_1)
	v_rcp_iflag_f32_e32 v1, v1
	v_mul_f32_e32 v1, 0x4f7ffffe, v1
	s_delay_alu instid0(VALU_DEP_1) | instskip(NEXT) | instid1(VALU_DEP_1)
	v_cvt_u32_f32_e32 v1, v1
	v_readfirstlane_b32 s2, v1
	s_delay_alu instid0(VALU_DEP_1) | instskip(NEXT) | instid1(SALU_CYCLE_1)
	s_mul_i32 s3, s3, s2
	s_mul_hi_u32 s3, s2, s3
	s_delay_alu instid0(SALU_CYCLE_1) | instskip(NEXT) | instid1(SALU_CYCLE_1)
	s_add_co_i32 s2, s2, s3
	s_mul_hi_u32 s2, s22, s2
	s_delay_alu instid0(SALU_CYCLE_1) | instskip(SKIP_2) | instid1(SALU_CYCLE_1)
	s_mul_i32 s3, s2, s20
	s_add_co_i32 s4, s2, 1
	s_sub_co_i32 s3, s22, s3
	s_sub_co_i32 s5, s3, s20
	s_cmp_ge_u32 s3, s20
	s_cselect_b32 s2, s4, s2
	s_cselect_b32 s3, s5, s3
	s_add_co_i32 s4, s2, 1
	s_cmp_ge_u32 s3, s20
	s_cselect_b32 s26, s4, s2
.LBB0_2:
	s_load_b128 s[8:11], s[0:1], 0x8
	s_load_b128 s[4:7], s[14:15], 0x0
	s_load_b64 s[2:3], s[0:1], 0x0
	s_mul_u64 s[18:19], s[26:27], s[20:21]
	s_delay_alu instid0(SALU_CYCLE_1) | instskip(NEXT) | instid1(SALU_CYCLE_1)
	s_sub_nc_u64 s[18:19], s[22:23], s[18:19]
	s_lshl_b64 s[18:19], s[18:19], 4
	s_wait_kmcnt 0x0
	v_cmp_lt_u64_e64 s24, s[10:11], 3
	s_delay_alu instid0(VALU_DEP_1)
	s_and_b32 vcc_lo, exec_lo, s24
	s_mul_u64 s[24:25], s[6:7], s[18:19]
	s_cbranch_vccnz .LBB0_12
; %bb.3:
	s_add_nc_u64 s[28:29], s[14:15], 16
	s_add_nc_u64 s[12:13], s[12:13], 16
	s_mov_b64 s[30:31], 2
	s_mov_b32 s34, 0
.LBB0_4:                                ; =>This Inner Loop Header: Depth=1
	s_load_b64 s[36:37], s[12:13], 0x0
                                        ; implicit-def: $sgpr40_sgpr41
	s_wait_kmcnt 0x0
	s_or_b64 s[38:39], s[26:27], s[36:37]
	s_delay_alu instid0(SALU_CYCLE_1)
	s_mov_b32 s35, s39
	s_mov_b32 s39, -1
	s_cmp_lg_u64 s[34:35], 0
	s_cbranch_scc0 .LBB0_6
; %bb.5:                                ;   in Loop: Header=BB0_4 Depth=1
	s_cvt_f32_u32 s33, s36
	s_cvt_f32_u32 s35, s37
	s_sub_nc_u64 s[42:43], 0, s[36:37]
	s_mov_b32 s39, 0
	s_mov_b32 s47, s34
	s_wait_alu 0xfffe
	s_fmamk_f32 s33, s35, 0x4f800000, s33
	s_wait_alu 0xfffe
	s_delay_alu instid0(SALU_CYCLE_2) | instskip(NEXT) | instid1(TRANS32_DEP_1)
	v_s_rcp_f32 s33, s33
	s_mul_f32 s33, s33, 0x5f7ffffc
	s_wait_alu 0xfffe
	s_delay_alu instid0(SALU_CYCLE_2) | instskip(NEXT) | instid1(SALU_CYCLE_3)
	s_mul_f32 s35, s33, 0x2f800000
	s_trunc_f32 s35, s35
	s_delay_alu instid0(SALU_CYCLE_3) | instskip(SKIP_2) | instid1(SALU_CYCLE_1)
	s_fmamk_f32 s33, s35, 0xcf800000, s33
	s_cvt_u32_f32 s41, s35
	s_wait_alu 0xfffe
	s_cvt_u32_f32 s40, s33
	s_wait_alu 0xfffe
	s_delay_alu instid0(SALU_CYCLE_2)
	s_mul_u64 s[44:45], s[42:43], s[40:41]
	s_wait_alu 0xfffe
	s_mul_hi_u32 s49, s40, s45
	s_mul_i32 s48, s40, s45
	s_mul_hi_u32 s38, s40, s44
	s_mul_i32 s35, s41, s44
	s_add_nc_u64 s[48:49], s[38:39], s[48:49]
	s_mul_hi_u32 s33, s41, s44
	s_mul_hi_u32 s50, s41, s45
	s_add_co_u32 s35, s48, s35
	s_wait_alu 0xfffe
	s_add_co_ci_u32 s46, s49, s33
	s_mul_i32 s44, s41, s45
	s_add_co_ci_u32 s45, s50, 0
	s_wait_alu 0xfffe
	s_add_nc_u64 s[44:45], s[46:47], s[44:45]
	s_wait_alu 0xfffe
	v_add_co_u32 v1, s33, s40, s44
	s_delay_alu instid0(VALU_DEP_1) | instskip(SKIP_1) | instid1(VALU_DEP_1)
	s_cmp_lg_u32 s33, 0
	s_add_co_ci_u32 s41, s41, s45
	v_readfirstlane_b32 s40, v1
	s_mov_b32 s45, s34
	s_wait_alu 0xfffe
	s_delay_alu instid0(VALU_DEP_1)
	s_mul_u64 s[42:43], s[42:43], s[40:41]
	s_wait_alu 0xfffe
	s_mul_hi_u32 s47, s40, s43
	s_mul_i32 s46, s40, s43
	s_mul_hi_u32 s38, s40, s42
	s_mul_i32 s35, s41, s42
	s_add_nc_u64 s[46:47], s[38:39], s[46:47]
	s_mul_hi_u32 s33, s41, s42
	s_mul_hi_u32 s40, s41, s43
	s_add_co_u32 s35, s46, s35
	s_wait_alu 0xfffe
	s_add_co_ci_u32 s44, s47, s33
	s_mul_i32 s42, s41, s43
	s_add_co_ci_u32 s43, s40, 0
	s_wait_alu 0xfffe
	s_add_nc_u64 s[42:43], s[44:45], s[42:43]
	s_wait_alu 0xfffe
	v_add_co_u32 v1, s33, v1, s42
	s_delay_alu instid0(VALU_DEP_1) | instskip(SKIP_1) | instid1(VALU_DEP_1)
	s_cmp_lg_u32 s33, 0
	s_add_co_ci_u32 s33, s41, s43
	v_readfirstlane_b32 s35, v1
	s_wait_alu 0xfffe
	s_mul_hi_u32 s41, s26, s33
	s_mul_i32 s40, s26, s33
	s_mul_hi_u32 s43, s27, s33
	s_mul_i32 s42, s27, s33
	;; [unrolled: 2-line block ×3, first 2 shown]
	s_wait_alu 0xfffe
	s_add_nc_u64 s[40:41], s[38:39], s[40:41]
	s_mul_hi_u32 s35, s27, s35
	s_wait_alu 0xfffe
	s_add_co_u32 s33, s40, s33
	s_add_co_ci_u32 s44, s41, s35
	s_add_co_ci_u32 s43, s43, 0
	s_wait_alu 0xfffe
	s_add_nc_u64 s[40:41], s[44:45], s[42:43]
	s_wait_alu 0xfffe
	s_mul_u64 s[42:43], s[36:37], s[40:41]
	s_add_nc_u64 s[44:45], s[40:41], 1
	s_wait_alu 0xfffe
	v_sub_co_u32 v1, s33, s26, s42
	s_sub_co_i32 s35, s27, s43
	s_cmp_lg_u32 s33, 0
	s_add_nc_u64 s[46:47], s[40:41], 2
	s_delay_alu instid0(VALU_DEP_1) | instskip(SKIP_2) | instid1(VALU_DEP_1)
	v_sub_co_u32 v2, s38, v1, s36
	s_sub_co_ci_u32 s35, s35, s37
	s_cmp_lg_u32 s38, 0
	v_readfirstlane_b32 s38, v2
	s_sub_co_ci_u32 s35, s35, 0
	s_delay_alu instid0(SALU_CYCLE_1) | instskip(SKIP_1) | instid1(VALU_DEP_1)
	s_cmp_ge_u32 s35, s37
	s_cselect_b32 s42, -1, 0
	s_cmp_ge_u32 s38, s36
	s_cselect_b32 s38, -1, 0
	s_cmp_eq_u32 s35, s37
	s_wait_alu 0xfffe
	s_cselect_b32 s35, s38, s42
	s_delay_alu instid0(SALU_CYCLE_1)
	s_cmp_lg_u32 s35, 0
	s_cselect_b32 s35, s46, s44
	s_cselect_b32 s38, s47, s45
	s_cmp_lg_u32 s33, 0
	v_readfirstlane_b32 s33, v1
	s_sub_co_ci_u32 s42, s27, s43
	s_wait_alu 0xfffe
	s_cmp_ge_u32 s42, s37
	s_cselect_b32 s43, -1, 0
	s_cmp_ge_u32 s33, s36
	s_cselect_b32 s33, -1, 0
	s_cmp_eq_u32 s42, s37
	s_wait_alu 0xfffe
	s_cselect_b32 s33, s33, s43
	s_wait_alu 0xfffe
	s_cmp_lg_u32 s33, 0
	s_cselect_b32 s41, s38, s41
	s_cselect_b32 s40, s35, s40
.LBB0_6:                                ;   in Loop: Header=BB0_4 Depth=1
	s_and_not1_b32 vcc_lo, exec_lo, s39
	s_cbranch_vccnz .LBB0_8
; %bb.7:                                ;   in Loop: Header=BB0_4 Depth=1
	v_cvt_f32_u32_e32 v1, s36
	s_sub_co_i32 s35, 0, s36
	s_mov_b32 s41, s34
	s_delay_alu instid0(VALU_DEP_1) | instskip(NEXT) | instid1(TRANS32_DEP_1)
	v_rcp_iflag_f32_e32 v1, v1
	v_mul_f32_e32 v1, 0x4f7ffffe, v1
	s_delay_alu instid0(VALU_DEP_1) | instskip(NEXT) | instid1(VALU_DEP_1)
	v_cvt_u32_f32_e32 v1, v1
	v_readfirstlane_b32 s33, v1
	s_delay_alu instid0(VALU_DEP_1) | instskip(NEXT) | instid1(SALU_CYCLE_1)
	s_mul_i32 s35, s35, s33
	s_mul_hi_u32 s35, s33, s35
	s_delay_alu instid0(SALU_CYCLE_1)
	s_add_co_i32 s33, s33, s35
	s_wait_alu 0xfffe
	s_mul_hi_u32 s33, s26, s33
	s_wait_alu 0xfffe
	s_mul_i32 s35, s33, s36
	s_add_co_i32 s38, s33, 1
	s_sub_co_i32 s35, s26, s35
	s_delay_alu instid0(SALU_CYCLE_1)
	s_sub_co_i32 s39, s35, s36
	s_cmp_ge_u32 s35, s36
	s_cselect_b32 s33, s38, s33
	s_cselect_b32 s35, s39, s35
	s_wait_alu 0xfffe
	s_add_co_i32 s38, s33, 1
	s_cmp_ge_u32 s35, s36
	s_cselect_b32 s40, s38, s33
.LBB0_8:                                ;   in Loop: Header=BB0_4 Depth=1
	s_load_b64 s[38:39], s[28:29], 0x0
	s_add_nc_u64 s[30:31], s[30:31], 1
	s_mul_u64 s[20:21], s[36:37], s[20:21]
	s_wait_alu 0xfffe
	v_cmp_ge_u64_e64 s33, s[30:31], s[10:11]
	s_mul_u64 s[36:37], s[40:41], s[36:37]
	s_add_nc_u64 s[28:29], s[28:29], 8
	s_wait_alu 0xfffe
	s_sub_nc_u64 s[26:27], s[26:27], s[36:37]
	s_add_nc_u64 s[12:13], s[12:13], 8
	s_and_b32 vcc_lo, exec_lo, s33
	s_wait_kmcnt 0x0
	s_wait_alu 0xfffe
	s_mul_u64 s[26:27], s[38:39], s[26:27]
	s_wait_alu 0xfffe
	s_add_nc_u64 s[24:25], s[26:27], s[24:25]
	s_cbranch_vccnz .LBB0_10
; %bb.9:                                ;   in Loop: Header=BB0_4 Depth=1
	s_mov_b64 s[26:27], s[40:41]
	s_branch .LBB0_4
.LBB0_10:
	v_cmp_lt_u64_e64 s12, s[22:23], s[20:21]
	s_mov_b64 s[26:27], 0
	s_delay_alu instid0(VALU_DEP_1)
	s_and_b32 vcc_lo, exec_lo, s12
	s_cbranch_vccnz .LBB0_12
; %bb.11:
	v_cvt_f32_u32_e32 v1, s20
	s_sub_co_i32 s13, 0, s20
	s_mov_b32 s27, 0
	s_delay_alu instid0(VALU_DEP_1) | instskip(NEXT) | instid1(TRANS32_DEP_1)
	v_rcp_iflag_f32_e32 v1, v1
	v_mul_f32_e32 v1, 0x4f7ffffe, v1
	s_delay_alu instid0(VALU_DEP_1) | instskip(NEXT) | instid1(VALU_DEP_1)
	v_cvt_u32_f32_e32 v1, v1
	v_readfirstlane_b32 s12, v1
	s_delay_alu instid0(VALU_DEP_1) | instskip(NEXT) | instid1(SALU_CYCLE_1)
	s_mul_i32 s13, s13, s12
	s_mul_hi_u32 s13, s12, s13
	s_delay_alu instid0(SALU_CYCLE_1) | instskip(NEXT) | instid1(SALU_CYCLE_1)
	s_add_co_i32 s12, s12, s13
	s_mul_hi_u32 s12, s22, s12
	s_delay_alu instid0(SALU_CYCLE_1) | instskip(SKIP_2) | instid1(SALU_CYCLE_1)
	s_mul_i32 s13, s12, s20
	s_add_co_i32 s21, s12, 1
	s_sub_co_i32 s13, s22, s13
	s_sub_co_i32 s22, s13, s20
	s_cmp_ge_u32 s13, s20
	s_wait_alu 0xfffe
	s_cselect_b32 s12, s21, s12
	s_cselect_b32 s13, s22, s13
	s_add_co_i32 s21, s12, 1
	s_cmp_ge_u32 s13, s20
	s_wait_alu 0xfffe
	s_cselect_b32 s26, s21, s12
.LBB0_12:
	s_load_b64 s[12:13], s[0:1], 0x58
	s_lshl_b64 s[0:1], s[10:11], 3
	v_lshrrev_b32_e32 v17, 4, v0
	s_add_nc_u64 s[0:1], s[14:15], s[0:1]
	s_add_nc_u64 s[14:15], s[18:19], 16
	s_load_b64 s[10:11], s[0:1], 0x0
	v_cmp_le_u64_e64 s14, s[14:15], s[16:17]
	v_cmp_gt_u32_e64 s0, 0x120, v0
	v_and_b32_e32 v16, 15, v0
	v_add_nc_u32_e32 v21, 18, v17
	v_add_nc_u32_e32 v20, 36, v17
	;; [unrolled: 1-line block ×5, first 2 shown]
	s_and_b32 s15, s0, s14
                                        ; implicit-def: $vgpr6
                                        ; implicit-def: $vgpr13
                                        ; implicit-def: $vgpr8
                                        ; implicit-def: $vgpr15
                                        ; implicit-def: $vgpr4
                                        ; implicit-def: $vgpr11
	s_wait_kmcnt 0x0
	s_mul_u64 s[10:11], s[10:11], s[26:27]
	s_wait_alu 0xfffe
	s_add_nc_u64 s[10:11], s[10:11], s[24:25]
	s_and_saveexec_b32 s1, s15
	s_cbranch_execz .LBB0_14
; %bb.13:
	v_mad_co_u64_u32 v[1:2], null, s6, v16, 0
	v_mad_co_u64_u32 v[3:4], null, s4, v17, 0
	;; [unrolled: 1-line block ×5, first 2 shown]
	s_delay_alu instid0(VALU_DEP_4) | instskip(NEXT) | instid1(VALU_DEP_4)
	v_mad_co_u64_u32 v[10:11], null, s7, v16, v[2:3]
	v_mov_b32_e32 v2, v6
	v_mad_co_u64_u32 v[11:12], null, s5, v17, v[4:5]
	v_mad_co_u64_u32 v[12:13], null, s4, v19, 0
	s_delay_alu instid0(VALU_DEP_3) | instskip(SKIP_3) | instid1(VALU_DEP_4)
	v_mad_co_u64_u32 v[14:15], null, s5, v21, v[2:3]
	v_mov_b32_e32 v2, v10
	s_wait_alu 0xfffe
	s_lshl_b64 s[20:21], s[10:11], 3
	v_mov_b32_e32 v4, v11
	s_wait_alu 0xfffe
	s_add_nc_u64 s[20:21], s[12:13], s[20:21]
	v_mov_b32_e32 v10, v13
	v_lshlrev_b64_e32 v[1:2], 3, v[1:2]
	v_mov_b32_e32 v6, v14
	v_lshlrev_b64_e32 v[3:4], 3, v[3:4]
	v_mad_co_u64_u32 v[14:15], null, s4, v18, 0
	v_mad_co_u64_u32 v[10:11], null, s5, v19, v[10:11]
	s_wait_alu 0xfffe
	v_add_co_u32 v26, vcc_lo, s20, v1
	v_add_co_ci_u32_e32 v27, vcc_lo, s21, v2, vcc_lo
	v_mad_co_u64_u32 v[1:2], null, s5, v20, v[8:9]
	s_delay_alu instid0(VALU_DEP_3)
	v_add_co_u32 v2, vcc_lo, v26, v3
	v_lshlrev_b64_e32 v[5:6], 3, v[5:6]
	s_wait_alu 0xfffd
	v_add_co_ci_u32_e32 v3, vcc_lo, v27, v4, vcc_lo
	v_dual_mov_b32 v4, v15 :: v_dual_mov_b32 v13, v10
	v_dual_mov_b32 v8, v1 :: v_dual_mov_b32 v1, v23
	s_delay_alu instid0(VALU_DEP_2)
	v_mad_co_u64_u32 v[10:11], null, s5, v18, v[4:5]
	v_add_co_u32 v4, vcc_lo, v26, v5
	s_wait_alu 0xfffd
	v_add_co_ci_u32_e32 v5, vcc_lo, v27, v6, vcc_lo
	v_lshlrev_b64_e32 v[6:7], 3, v[7:8]
	v_mad_co_u64_u32 v[23:24], null, s5, v9, v[1:2]
	v_mov_b32_e32 v15, v10
	v_lshlrev_b64_e32 v[11:12], 3, v[12:13]
	s_delay_alu instid0(VALU_DEP_4) | instskip(NEXT) | instid1(VALU_DEP_3)
	v_add_co_u32 v6, vcc_lo, v26, v6
	v_lshlrev_b64_e32 v[13:14], 3, v[14:15]
	s_wait_alu 0xfffd
	v_add_co_ci_u32_e32 v7, vcc_lo, v27, v7, vcc_lo
	s_delay_alu instid0(VALU_DEP_4)
	v_add_co_u32 v24, vcc_lo, v26, v11
	v_lshlrev_b64_e32 v[10:11], 3, v[22:23]
	s_wait_alu 0xfffd
	v_add_co_ci_u32_e32 v25, vcc_lo, v27, v12, vcc_lo
	v_add_co_u32 v12, vcc_lo, v26, v13
	s_wait_alu 0xfffd
	v_add_co_ci_u32_e32 v13, vcc_lo, v27, v14, vcc_lo
	v_add_co_u32 v22, vcc_lo, v26, v10
	s_wait_alu 0xfffd
	v_add_co_ci_u32_e32 v23, vcc_lo, v27, v11, vcc_lo
	s_clause 0x5
	global_load_b64 v[10:11], v[2:3], off
	global_load_b64 v[3:4], v[4:5], off
	;; [unrolled: 1-line block ×6, first 2 shown]
.LBB0_14:
	s_or_b32 exec_lo, exec_lo, s1
	v_mov_b32_e32 v2, s19
	v_or_b32_e32 v1, s18, v16
	s_xor_b32 s1, s14, -1
	s_delay_alu instid0(VALU_DEP_1) | instskip(SKIP_3) | instid1(SALU_CYCLE_1)
	v_cmp_gt_u64_e32 vcc_lo, s[16:17], v[1:2]
	s_and_b32 s15, s0, vcc_lo
	s_wait_alu 0xfffe
	s_and_b32 s1, s1, s15
	s_and_saveexec_b32 s15, s1
	s_cbranch_execz .LBB0_16
; %bb.15:
	s_wait_loadcnt 0x4
	v_mad_co_u64_u32 v[2:3], null, s6, v16, 0
	s_wait_loadcnt 0x0
	v_mad_co_u64_u32 v[4:5], null, s4, v17, 0
	v_mad_co_u64_u32 v[6:7], null, s4, v21, 0
	;; [unrolled: 1-line block ×3, first 2 shown]
	s_lshl_b64 s[16:17], s[10:11], 3
	s_delay_alu instid0(VALU_DEP_3) | instskip(NEXT) | instid1(VALU_DEP_3)
	v_mad_co_u64_u32 v[12:13], null, s7, v16, v[3:4]
	v_mov_b32_e32 v3, v7
	s_delay_alu instid0(VALU_DEP_4) | instskip(NEXT) | instid1(VALU_DEP_4)
	v_mad_co_u64_u32 v[7:8], null, s5, v17, v[5:6]
	v_mov_b32_e32 v8, v11
	s_wait_alu 0xfffe
	s_add_nc_u64 s[16:17], s[12:13], s[16:17]
	v_mad_co_u64_u32 v[21:22], null, s5, v21, v[3:4]
	v_mad_co_u64_u32 v[22:23], null, s4, v9, 0
	v_mov_b32_e32 v3, v12
	v_mov_b32_e32 v5, v7
	v_mad_co_u64_u32 v[13:14], null, s4, v19, 0
	v_mov_b32_e32 v7, v21
	s_delay_alu instid0(VALU_DEP_4) | instskip(NEXT) | instid1(VALU_DEP_4)
	v_lshlrev_b64_e32 v[2:3], 3, v[2:3]
	v_lshlrev_b64_e32 v[4:5], 3, v[4:5]
	s_delay_alu instid0(VALU_DEP_3) | instskip(SKIP_2) | instid1(VALU_DEP_4)
	v_lshlrev_b64_e32 v[6:7], 3, v[6:7]
	v_mov_b32_e32 v11, v14
	s_wait_alu 0xfffe
	v_add_co_u32 v24, s1, s16, v2
	s_delay_alu instid0(VALU_DEP_1) | instskip(SKIP_2) | instid1(VALU_DEP_4)
	v_add_co_ci_u32_e64 v25, s1, s17, v3, s1
	v_mad_co_u64_u32 v[2:3], null, s5, v20, v[8:9]
	v_mad_co_u64_u32 v[20:21], null, s4, v18, 0
	v_add_co_u32 v3, s1, v24, v4
	s_wait_alu 0xf1ff
	v_add_co_ci_u32_e64 v4, s1, v25, v5, s1
	v_mad_co_u64_u32 v[14:15], null, s5, v19, v[11:12]
	s_delay_alu instid0(VALU_DEP_4) | instskip(SKIP_1) | instid1(VALU_DEP_2)
	v_mov_b32_e32 v5, v21
	v_dual_mov_b32 v11, v2 :: v_dual_mov_b32 v2, v23
	v_mad_co_u64_u32 v[18:19], null, s5, v18, v[5:6]
	v_add_co_u32 v5, s1, v24, v6
	s_wait_alu 0xf1ff
	v_add_co_ci_u32_e64 v6, s1, v25, v7, s1
	v_lshlrev_b64_e32 v[7:8], 3, v[10:11]
	v_mad_co_u64_u32 v[9:10], null, s5, v9, v[2:3]
	v_mov_b32_e32 v21, v18
	v_lshlrev_b64_e32 v[10:11], 3, v[13:14]
	s_delay_alu instid0(VALU_DEP_4) | instskip(NEXT) | instid1(VALU_DEP_3)
	v_add_co_u32 v7, s1, v24, v7
	v_lshlrev_b64_e32 v[12:13], 3, v[20:21]
	v_mov_b32_e32 v23, v9
	s_wait_alu 0xf1ff
	v_add_co_ci_u32_e64 v8, s1, v25, v8, s1
	v_add_co_u32 v18, s1, v24, v10
	s_delay_alu instid0(VALU_DEP_3)
	v_lshlrev_b64_e32 v[9:10], 3, v[22:23]
	s_wait_alu 0xf1ff
	v_add_co_ci_u32_e64 v19, s1, v25, v11, s1
	v_add_co_u32 v12, s1, v24, v12
	s_wait_alu 0xf1ff
	v_add_co_ci_u32_e64 v13, s1, v25, v13, s1
	v_add_co_u32 v20, s1, v24, v9
	s_wait_alu 0xf1ff
	v_add_co_ci_u32_e64 v21, s1, v25, v10, s1
	s_clause 0x5
	global_load_b64 v[10:11], v[3:4], off
	global_load_b64 v[3:4], v[5:6], off
	;; [unrolled: 1-line block ×6, first 2 shown]
.LBB0_16:
	s_wait_alu 0xfffe
	s_or_b32 exec_lo, exec_lo, s15
	s_wait_loadcnt 0x1
	v_dual_add_f32 v2, v12, v14 :: v_dual_add_f32 v19, v13, v15
	v_dual_add_f32 v9, v14, v10 :: v_dual_sub_f32 v18, v15, v13
	v_sub_f32_e32 v14, v14, v12
	s_delay_alu instid0(VALU_DEP_3) | instskip(NEXT) | instid1(VALU_DEP_3)
	v_fmac_f32_e32 v10, -0.5, v2
	v_dual_add_f32 v2, v15, v11 :: v_dual_add_f32 v9, v12, v9
	v_fmac_f32_e32 v11, -0.5, v19
	s_wait_loadcnt 0x0
	s_delay_alu instid0(VALU_DEP_3) | instskip(SKIP_1) | instid1(VALU_DEP_3)
	v_dual_add_f32 v15, v5, v7 :: v_dual_fmamk_f32 v12, v18, 0x3f5db3d7, v10
	v_dual_fmac_f32 v10, 0xbf5db3d7, v18 :: v_dual_add_f32 v19, v7, v3
	v_fmamk_f32 v18, v14, 0xbf5db3d7, v11
	s_delay_alu instid0(VALU_DEP_3) | instskip(SKIP_3) | instid1(VALU_DEP_2)
	v_fmac_f32_e32 v3, -0.5, v15
	v_sub_f32_e32 v15, v8, v6
	v_dual_add_f32 v13, v13, v2 :: v_dual_add_f32 v2, v6, v8
	v_dual_fmac_f32 v11, 0x3f5db3d7, v14 :: v_dual_add_f32 v8, v8, v4
	v_fmac_f32_e32 v4, -0.5, v2
	v_sub_f32_e32 v2, v7, v5
	v_fmamk_f32 v7, v15, 0x3f5db3d7, v3
	v_fmac_f32_e32 v3, 0xbf5db3d7, v15
	v_add_f32_e32 v14, v5, v19
	v_add_f32_e32 v20, v6, v8
	v_fmamk_f32 v5, v2, 0xbf5db3d7, v4
	v_dual_fmac_f32 v4, 0x3f5db3d7, v2 :: v_dual_mul_f32 v15, 0.5, v7
	v_mul_f32_e32 v19, -0.5, v3
	v_dual_mul_f32 v21, 0xbf5db3d7, v7 :: v_dual_add_f32 v2, v14, v9
	s_delay_alu instid0(VALU_DEP_3) | instskip(NEXT) | instid1(VALU_DEP_3)
	v_mul_f32_e32 v22, -0.5, v4
	v_dual_sub_f32 v8, v9, v14 :: v_dual_fmac_f32 v19, 0x3f5db3d7, v4
	v_fmac_f32_e32 v15, 0x3f5db3d7, v5
	s_delay_alu instid0(VALU_DEP_3) | instskip(NEXT) | instid1(VALU_DEP_3)
	v_dual_fmac_f32 v21, 0.5, v5 :: v_dual_fmac_f32 v22, 0xbf5db3d7, v3
	v_dual_add_f32 v3, v20, v13 :: v_dual_add_f32 v6, v10, v19
	s_delay_alu instid0(VALU_DEP_2) | instskip(NEXT) | instid1(VALU_DEP_3)
	v_dual_add_f32 v4, v12, v15 :: v_dual_add_f32 v5, v18, v21
	v_dual_add_f32 v7, v11, v22 :: v_dual_sub_f32 v12, v12, v15
	v_dual_sub_f32 v10, v10, v19 :: v_dual_sub_f32 v9, v13, v20
	v_dual_sub_f32 v13, v18, v21 :: v_dual_lshlrev_b32 v14, 3, v16
	v_sub_f32_e32 v11, v11, v22
	s_and_saveexec_b32 s1, s0
	s_cbranch_execz .LBB0_18
; %bb.17:
	v_mul_u32_u24_e32 v15, 0x60, v17
	s_delay_alu instid0(VALU_DEP_1) | instskip(NEXT) | instid1(VALU_DEP_1)
	v_lshlrev_b32_e32 v15, 3, v15
	v_add3_u32 v15, 0, v15, v14
	ds_store_2addr_b64 v15, v[2:3], v[4:5] offset1:16
	ds_store_2addr_b64 v15, v[6:7], v[8:9] offset0:32 offset1:48
	ds_store_2addr_b64 v15, v[12:13], v[10:11] offset0:64 offset1:80
.LBB0_18:
	s_wait_alu 0xfffe
	s_or_b32 exec_lo, exec_lo, s1
	v_lshlrev_b32_e32 v15, 7, v17
	global_wb scope:SCOPE_SE
	s_wait_dscnt 0x0
	s_barrier_signal -1
	s_barrier_wait -1
	global_inv scope:SCOPE_SE
	s_and_saveexec_b32 s1, s0
	s_cbranch_execz .LBB0_20
; %bb.19:
	v_add3_u32 v10, 0, v15, v14
	ds_load_b64 v[2:3], v10
	ds_load_b64 v[4:5], v10 offset:2304
	ds_load_b64 v[6:7], v10 offset:4608
	;; [unrolled: 1-line block ×5, first 2 shown]
.LBB0_20:
	s_wait_alu 0xfffe
	s_or_b32 exec_lo, exec_lo, s1
	global_wb scope:SCOPE_SE
	s_wait_dscnt 0x0
	s_barrier_signal -1
	s_barrier_wait -1
	global_inv scope:SCOPE_SE
	s_and_saveexec_b32 s1, s0
	s_cbranch_execz .LBB0_22
; %bb.21:
	v_mul_lo_u16 v18, v17, 43
	s_delay_alu instid0(VALU_DEP_1) | instskip(NEXT) | instid1(VALU_DEP_1)
	v_lshrrev_b16 v28, 8, v18
	v_mul_lo_u16 v18, v28, 6
	s_delay_alu instid0(VALU_DEP_1) | instskip(NEXT) | instid1(VALU_DEP_1)
	v_sub_nc_u16 v29, v17, v18
	v_mul_lo_u16 v18, v29, 5
	v_mad_u16 v28, v28, 36, v29
	s_delay_alu instid0(VALU_DEP_2) | instskip(NEXT) | instid1(VALU_DEP_1)
	v_and_b32_e32 v18, 0xff, v18
	v_lshlrev_b32_e32 v26, 3, v18
	s_clause 0x2
	global_load_b128 v[18:21], v26, s[2:3]
	global_load_b128 v[22:25], v26, s[2:3] offset:16
	global_load_b64 v[26:27], v26, s[2:3] offset:32
	s_wait_loadcnt 0x2
	v_dual_mul_f32 v31, v7, v21 :: v_dual_and_b32 v28, 0xff, v28
	s_wait_loadcnt 0x1
	v_mul_f32_e32 v32, v13, v25
	s_delay_alu instid0(VALU_DEP_2)
	v_dual_mul_f32 v25, v12, v25 :: v_dual_lshlrev_b32 v28, 7, v28
	v_mul_f32_e32 v33, v5, v19
	v_mul_f32_e32 v21, v6, v21
	v_fma_f32 v6, v6, v20, -v31
	v_mul_f32_e32 v34, v9, v23
	v_add3_u32 v28, 0, v28, v14
	s_wait_loadcnt 0x0
	v_mul_f32_e32 v35, v11, v27
	v_mul_f32_e32 v23, v8, v23
	v_fmac_f32_e32 v21, v7, v20
	v_mul_f32_e32 v19, v4, v19
	v_add_nc_u32_e32 v29, 0x400, v28
	v_add_nc_u32_e32 v30, 0x800, v28
	v_fma_f32 v12, v12, v24, -v32
	v_fma_f32 v7, v8, v22, -v34
	;; [unrolled: 1-line block ×3, first 2 shown]
	v_mul_f32_e32 v27, v10, v27
	v_fma_f32 v4, v4, v18, -v33
	v_dual_add_f32 v20, v3, v21 :: v_dual_fmac_f32 v23, v9, v22
	s_delay_alu instid0(VALU_DEP_4) | instskip(NEXT) | instid1(VALU_DEP_4)
	v_add_f32_e32 v10, v7, v8
	v_fmac_f32_e32 v27, v11, v26
	v_fmac_f32_e32 v19, v5, v18
	;; [unrolled: 1-line block ×3, first 2 shown]
	s_delay_alu instid0(VALU_DEP_3) | instskip(NEXT) | instid1(VALU_DEP_3)
	v_dual_sub_f32 v5, v6, v12 :: v_dual_add_f32 v18, v23, v27
	v_add_f32_e32 v22, v19, v23
	v_sub_f32_e32 v11, v23, v27
	v_sub_f32_e32 v13, v7, v8
	v_add_f32_e32 v23, v6, v12
	v_dual_add_f32 v6, v2, v6 :: v_dual_add_f32 v7, v4, v7
	s_delay_alu instid0(VALU_DEP_1) | instskip(NEXT) | instid1(VALU_DEP_2)
	v_add_f32_e32 v6, v6, v12
	v_add_f32_e32 v7, v7, v8
	;; [unrolled: 1-line block ×3, first 2 shown]
	s_delay_alu instid0(VALU_DEP_1)
	v_fma_f32 v24, -0.5, v9, v3
	v_fma_f32 v9, -0.5, v10, v4
	;; [unrolled: 1-line block ×3, first 2 shown]
	v_add_f32_e32 v10, v20, v25
	v_add_f32_e32 v18, v22, v27
	v_fmamk_f32 v8, v5, 0x3f5db3d7, v24
	v_fmamk_f32 v12, v11, 0xbf5db3d7, v9
	v_fma_f32 v19, -0.5, v23, v2
	v_fmac_f32_e32 v24, 0xbf5db3d7, v5
	v_fmamk_f32 v20, v13, 0x3f5db3d7, v4
	v_fmac_f32_e32 v4, 0xbf5db3d7, v13
	v_dual_sub_f32 v2, v6, v7 :: v_dual_sub_f32 v21, v21, v25
	v_sub_f32_e32 v3, v10, v18
	s_delay_alu instid0(VALU_DEP_3) | instskip(NEXT) | instid1(VALU_DEP_3)
	v_dual_add_f32 v5, v10, v18 :: v_dual_mul_f32 v18, 0x3f5db3d7, v4
	v_fmamk_f32 v22, v21, 0xbf5db3d7, v19
	v_fmac_f32_e32 v19, 0x3f5db3d7, v21
	v_mul_f32_e32 v21, -0.5, v12
	s_delay_alu instid0(VALU_DEP_1) | instskip(NEXT) | instid1(VALU_DEP_1)
	v_fmac_f32_e32 v21, 0x3f5db3d7, v20
	v_dual_fmac_f32 v9, 0x3f5db3d7, v11 :: v_dual_add_f32 v10, v22, v21
	s_delay_alu instid0(VALU_DEP_1) | instskip(NEXT) | instid1(VALU_DEP_1)
	v_mul_f32_e32 v13, 0xbf5db3d7, v9
	v_dual_fmac_f32 v13, 0.5, v4 :: v_dual_add_f32 v4, v6, v7
	v_dual_sub_f32 v6, v22, v21 :: v_dual_mul_f32 v11, -0.5, v20
	v_fmac_f32_e32 v18, 0.5, v9
	s_delay_alu instid0(VALU_DEP_3) | instskip(SKIP_1) | instid1(VALU_DEP_3)
	v_sub_f32_e32 v9, v24, v13
	v_add_f32_e32 v13, v24, v13
	v_dual_fmac_f32 v11, 0xbf5db3d7, v12 :: v_dual_add_f32 v12, v19, v18
	s_delay_alu instid0(VALU_DEP_1)
	v_sub_f32_e32 v7, v8, v11
	v_dual_add_f32 v11, v8, v11 :: v_dual_sub_f32 v8, v19, v18
	ds_store_2addr_b64 v28, v[4:5], v[12:13] offset1:96
	ds_store_2addr_b64 v29, v[10:11], v[2:3] offset0:64 offset1:160
	ds_store_2addr_b64 v30, v[8:9], v[6:7] offset0:128 offset1:224
.LBB0_22:
	s_wait_alu 0xfffe
	s_or_b32 exec_lo, exec_lo, s1
	s_or_b32 s0, s14, vcc_lo
	global_wb scope:SCOPE_SE
	s_wait_dscnt 0x0
	s_barrier_signal -1
	s_barrier_wait -1
	global_inv scope:SCOPE_SE
	s_wait_alu 0xfffe
	s_and_saveexec_b32 s1, s0
	s_cbranch_execz .LBB0_24
; %bb.23:
	v_subrev_nc_u32_e32 v2, 36, v17
	v_cmp_gt_u32_e32 vcc_lo, 0x240, v0
	v_mad_co_u64_u32 v[31:32], null, s6, v16, 0
	s_lshl_b64 s[0:1], s[10:11], 3
	s_wait_alu 0xfffd
	v_cndmask_b32_e32 v5, v2, v17, vcc_lo
	s_wait_alu 0xfffe
	s_add_nc_u64 s[0:1], s[12:13], s[0:1]
	s_delay_alu instid0(VALU_DEP_1) | instskip(NEXT) | instid1(VALU_DEP_1)
	v_add_nc_u32_e32 v4, 0x48, v5
	v_mul_lo_u32 v8, v1, v4
	s_delay_alu instid0(VALU_DEP_1) | instskip(SKIP_2) | instid1(VALU_DEP_1)
	v_and_b32_e32 v11, 0xff, v8
	v_lshrrev_b32_e32 v12, 5, v8
	v_lshrrev_b32_e32 v8, 13, v8
	v_dual_mov_b32 v3, 0 :: v_dual_and_b32 v8, 0x7f8, v8
	v_lshlrev_b32_e32 v2, 1, v5
	v_add_nc_u32_e32 v6, 36, v5
	v_mul_lo_u32 v7, v1, v5
	s_delay_alu instid0(VALU_DEP_3) | instskip(NEXT) | instid1(VALU_DEP_3)
	v_lshlrev_b64_e32 v[2:3], 3, v[2:3]
	v_mul_lo_u32 v6, v1, v6
	s_delay_alu instid0(VALU_DEP_3) | instskip(NEXT) | instid1(VALU_DEP_3)
	v_and_b32_e32 v9, 0xff, v7
	v_add_co_u32 v1, vcc_lo, s2, v2
	s_wait_alu 0xfffd
	s_delay_alu instid0(VALU_DEP_4) | instskip(NEXT) | instid1(VALU_DEP_4)
	v_add_co_ci_u32_e32 v2, vcc_lo, s3, v3, vcc_lo
	v_and_b32_e32 v13, 0xff, v6
	v_lshrrev_b32_e32 v17, 5, v6
	v_lshrrev_b32_e32 v10, 5, v7
	global_load_b128 v[1:4], v[1:2], off offset:240
	v_lshlrev_b32_e32 v23, 3, v9
	v_lshlrev_b32_e32 v9, 3, v11
	v_and_b32_e32 v11, 0x7f8, v12
	v_lshlrev_b32_e32 v13, 3, v13
	v_and_b32_e32 v19, 0x7f8, v17
	v_and_b32_e32 v21, 0x7f8, v10
	s_clause 0x5
	global_load_b64 v[9:10], v9, s[8:9]
	global_load_b64 v[11:12], v11, s[8:9] offset:2048
	global_load_b64 v[17:18], v13, s[8:9]
	global_load_b64 v[19:20], v19, s[8:9] offset:2048
	global_load_b64 v[21:22], v21, s[8:9] offset:2048
	global_load_b64 v[23:24], v23, s[8:9]
	v_lshrrev_b32_e32 v6, 13, v6
	v_lshrrev_b32_e32 v7, 13, v7
	v_cmp_lt_u32_e32 vcc_lo, 0x23f, v0
	s_delay_alu instid0(VALU_DEP_3) | instskip(NEXT) | instid1(VALU_DEP_3)
	v_and_b32_e32 v6, 0x7f8, v6
	v_and_b32_e32 v7, 0x7f8, v7
	s_clause 0x2
	global_load_b64 v[25:26], v8, s[8:9] offset:4096
	global_load_b64 v[27:28], v6, s[8:9] offset:4096
	global_load_b64 v[29:30], v7, s[8:9] offset:4096
	s_wait_alu 0xfffd
	v_cndmask_b32_e64 v0, 0, 0x6c, vcc_lo
	s_delay_alu instid0(VALU_DEP_1) | instskip(SKIP_1) | instid1(VALU_DEP_2)
	v_add_nc_u32_e32 v8, v5, v0
	v_mov_b32_e32 v0, v32
	v_mad_co_u64_u32 v[33:34], null, s4, v8, 0
	v_add_nc_u32_e32 v13, 36, v8
	v_add_nc_u32_e32 v39, 0x48, v8
	s_delay_alu instid0(VALU_DEP_2) | instskip(NEXT) | instid1(VALU_DEP_2)
	v_mad_co_u64_u32 v[35:36], null, s4, v13, 0
	v_mad_co_u64_u32 v[37:38], null, s4, v39, 0
	v_mov_b32_e32 v5, v34
	s_wait_loadcnt 0x9
	v_mad_co_u64_u32 v[6:7], null, s7, v16, v[0:1]
	s_delay_alu instid0(VALU_DEP_4) | instskip(SKIP_1) | instid1(VALU_DEP_2)
	v_mov_b32_e32 v0, v36
	v_add3_u32 v16, 0, v15, v14
	v_mad_co_u64_u32 v[13:14], null, s5, v13, v[0:1]
	s_delay_alu instid0(VALU_DEP_4) | instskip(SKIP_1) | instid1(VALU_DEP_3)
	v_mad_co_u64_u32 v[7:8], null, s5, v8, v[5:6]
	v_dual_mov_b32 v5, v38 :: v_dual_mov_b32 v32, v6
	v_mov_b32_e32 v36, v13
	s_delay_alu instid0(VALU_DEP_2) | instskip(NEXT) | instid1(VALU_DEP_4)
	v_mad_co_u64_u32 v[14:15], null, s5, v39, v[5:6]
	v_mov_b32_e32 v34, v7
	ds_load_2addr_stride64_b64 v[5:8], v16 offset1:9
	ds_load_b64 v[15:16], v16 offset:9216
	v_lshlrev_b64_e32 v[31:32], 3, v[31:32]
	v_lshlrev_b64_e32 v[33:34], 3, v[33:34]
	v_mov_b32_e32 v38, v14
	v_lshlrev_b64_e32 v[13:14], 3, v[35:36]
	s_wait_alu 0xfffe
	s_delay_alu instid0(VALU_DEP_4) | instskip(SKIP_3) | instid1(VALU_DEP_3)
	v_add_co_u32 v0, vcc_lo, s0, v31
	s_wait_alu 0xfffd
	v_add_co_ci_u32_e32 v39, vcc_lo, s1, v32, vcc_lo
	v_lshlrev_b64_e32 v[31:32], 3, v[37:38]
	v_add_co_u32 v33, vcc_lo, v0, v33
	s_wait_alu 0xfffd
	s_delay_alu instid0(VALU_DEP_3)
	v_add_co_ci_u32_e32 v34, vcc_lo, v39, v34, vcc_lo
	v_add_co_u32 v13, vcc_lo, v0, v13
	s_wait_alu 0xfffd
	v_add_co_ci_u32_e32 v14, vcc_lo, v39, v14, vcc_lo
	s_wait_dscnt 0x1
	v_mul_f32_e32 v35, v2, v8
	s_wait_dscnt 0x0
	v_mul_f32_e32 v36, v4, v16
	v_mul_f32_e32 v8, v1, v8
	;; [unrolled: 1-line block ×3, first 2 shown]
	v_add_co_u32 v31, vcc_lo, v0, v31
	v_fma_f32 v0, v1, v7, -v35
	v_fma_f32 v1, v3, v15, -v36
	v_fmac_f32_e32 v8, v2, v7
	v_fmac_f32_e32 v4, v3, v16
	s_wait_loadcnt 0x3
	v_mul_f32_e32 v16, v23, v22
	v_dual_mul_f32 v2, v10, v12 :: v_dual_add_f32 v35, v0, v1
	v_mul_f32_e32 v3, v9, v12
	v_mul_f32_e32 v7, v18, v20
	v_dual_mul_f32 v15, v24, v22 :: v_dual_mul_f32 v12, v17, v20
	s_delay_alu instid0(VALU_DEP_3)
	v_dual_sub_f32 v20, v0, v1 :: v_dual_fmac_f32 v3, v10, v11
	v_add_f32_e32 v22, v8, v4
	v_fma_f32 v2, v9, v11, -v2
	v_sub_f32_e32 v36, v8, v4
	v_add_f32_e32 v8, v8, v6
	v_fma_f32 v7, v17, v19, -v7
	v_add_f32_e32 v0, v0, v5
	v_fma_f32 v9, v23, v21, -v15
	v_fmac_f32_e32 v16, v24, v21
	v_fma_f32 v10, -0.5, v35, v5
	s_wait_loadcnt 0x2
	v_mul_f32_e32 v5, v2, v26
	s_wait_loadcnt 0x1
	v_mul_f32_e32 v11, v7, v28
	s_wait_loadcnt 0x0
	v_dual_mul_f32 v17, v9, v30 :: v_dual_fmac_f32 v12, v18, v19
	v_mul_f32_e32 v15, v16, v30
	v_dual_add_f32 v0, v0, v1 :: v_dual_mul_f32 v1, v3, v26
	v_fma_f32 v6, -0.5, v22, v6
	s_delay_alu instid0(VALU_DEP_4) | instskip(SKIP_1) | instid1(VALU_DEP_3)
	v_fmac_f32_e32 v11, v27, v12
	v_dual_add_f32 v4, v8, v4 :: v_dual_fmac_f32 v5, v25, v3
	v_dual_fmac_f32 v17, v29, v16 :: v_dual_fmamk_f32 v18, v20, 0x3f5db3d7, v6
	v_fmamk_f32 v19, v36, 0xbf5db3d7, v10
	v_mul_f32_e32 v8, v12, v28
	v_fmac_f32_e32 v10, 0x3f5db3d7, v36
	v_fmac_f32_e32 v6, 0xbf5db3d7, v20
	v_fma_f32 v20, v25, v2, -v1
	v_mul_f32_e32 v1, v19, v5
	v_fma_f32 v2, v27, v7, -v8
	v_fma_f32 v7, v29, v9, -v15
	v_mul_f32_e32 v8, v18, v5
	v_mul_f32_e32 v5, v0, v17
	v_mul_f32_e32 v3, v10, v11
	v_mul_f32_e32 v9, v4, v17
	v_mul_f32_e32 v11, v6, v11
	s_wait_alu 0xfffd
	v_add_co_ci_u32_e32 v32, vcc_lo, v39, v32, vcc_lo
	v_fmac_f32_e32 v5, v4, v7
	v_fma_f32 v4, v0, v7, -v9
	v_fmac_f32_e32 v3, v6, v2
	v_fma_f32 v2, v10, v2, -v11
	;; [unrolled: 2-line block ×3, first 2 shown]
	s_clause 0x2
	global_store_b64 v[33:34], v[4:5], off
	global_store_b64 v[13:14], v[2:3], off
	;; [unrolled: 1-line block ×3, first 2 shown]
.LBB0_24:
	s_nop 0
	s_sendmsg sendmsg(MSG_DEALLOC_VGPRS)
	s_endpgm
	.section	.rodata,"a",@progbits
	.p2align	6, 0x0
	.amdhsa_kernel fft_rtc_fwd_len108_factors_6_6_3_wgs_576_tpt_36_sp_ip_CI_sbcc_twdbase8_3step_dirReg
		.amdhsa_group_segment_fixed_size 0
		.amdhsa_private_segment_fixed_size 0
		.amdhsa_kernarg_size 96
		.amdhsa_user_sgpr_count 2
		.amdhsa_user_sgpr_dispatch_ptr 0
		.amdhsa_user_sgpr_queue_ptr 0
		.amdhsa_user_sgpr_kernarg_segment_ptr 1
		.amdhsa_user_sgpr_dispatch_id 0
		.amdhsa_user_sgpr_private_segment_size 0
		.amdhsa_wavefront_size32 1
		.amdhsa_uses_dynamic_stack 0
		.amdhsa_enable_private_segment 0
		.amdhsa_system_sgpr_workgroup_id_x 1
		.amdhsa_system_sgpr_workgroup_id_y 0
		.amdhsa_system_sgpr_workgroup_id_z 0
		.amdhsa_system_sgpr_workgroup_info 0
		.amdhsa_system_vgpr_workitem_id 0
		.amdhsa_next_free_vgpr 40
		.amdhsa_next_free_sgpr 51
		.amdhsa_reserve_vcc 1
		.amdhsa_float_round_mode_32 0
		.amdhsa_float_round_mode_16_64 0
		.amdhsa_float_denorm_mode_32 3
		.amdhsa_float_denorm_mode_16_64 3
		.amdhsa_fp16_overflow 0
		.amdhsa_workgroup_processor_mode 1
		.amdhsa_memory_ordered 1
		.amdhsa_forward_progress 0
		.amdhsa_round_robin_scheduling 0
		.amdhsa_exception_fp_ieee_invalid_op 0
		.amdhsa_exception_fp_denorm_src 0
		.amdhsa_exception_fp_ieee_div_zero 0
		.amdhsa_exception_fp_ieee_overflow 0
		.amdhsa_exception_fp_ieee_underflow 0
		.amdhsa_exception_fp_ieee_inexact 0
		.amdhsa_exception_int_div_zero 0
	.end_amdhsa_kernel
	.text
.Lfunc_end0:
	.size	fft_rtc_fwd_len108_factors_6_6_3_wgs_576_tpt_36_sp_ip_CI_sbcc_twdbase8_3step_dirReg, .Lfunc_end0-fft_rtc_fwd_len108_factors_6_6_3_wgs_576_tpt_36_sp_ip_CI_sbcc_twdbase8_3step_dirReg
                                        ; -- End function
	.section	.AMDGPU.csdata,"",@progbits
; Kernel info:
; codeLenInByte = 4368
; NumSgprs: 53
; NumVgprs: 40
; ScratchSize: 0
; MemoryBound: 0
; FloatMode: 240
; IeeeMode: 1
; LDSByteSize: 0 bytes/workgroup (compile time only)
; SGPRBlocks: 6
; VGPRBlocks: 4
; NumSGPRsForWavesPerEU: 53
; NumVGPRsForWavesPerEU: 40
; Occupancy: 14
; WaveLimiterHint : 1
; COMPUTE_PGM_RSRC2:SCRATCH_EN: 0
; COMPUTE_PGM_RSRC2:USER_SGPR: 2
; COMPUTE_PGM_RSRC2:TRAP_HANDLER: 0
; COMPUTE_PGM_RSRC2:TGID_X_EN: 1
; COMPUTE_PGM_RSRC2:TGID_Y_EN: 0
; COMPUTE_PGM_RSRC2:TGID_Z_EN: 0
; COMPUTE_PGM_RSRC2:TIDIG_COMP_CNT: 0
	.text
	.p2alignl 7, 3214868480
	.fill 96, 4, 3214868480
	.type	__hip_cuid_c678aaa144ffbc44,@object ; @__hip_cuid_c678aaa144ffbc44
	.section	.bss,"aw",@nobits
	.globl	__hip_cuid_c678aaa144ffbc44
__hip_cuid_c678aaa144ffbc44:
	.byte	0                               ; 0x0
	.size	__hip_cuid_c678aaa144ffbc44, 1

	.ident	"AMD clang version 19.0.0git (https://github.com/RadeonOpenCompute/llvm-project roc-6.4.0 25133 c7fe45cf4b819c5991fe208aaa96edf142730f1d)"
	.section	".note.GNU-stack","",@progbits
	.addrsig
	.addrsig_sym __hip_cuid_c678aaa144ffbc44
	.amdgpu_metadata
---
amdhsa.kernels:
  - .args:
      - .actual_access:  read_only
        .address_space:  global
        .offset:         0
        .size:           8
        .value_kind:     global_buffer
      - .address_space:  global
        .offset:         8
        .size:           8
        .value_kind:     global_buffer
      - .offset:         16
        .size:           8
        .value_kind:     by_value
      - .actual_access:  read_only
        .address_space:  global
        .offset:         24
        .size:           8
        .value_kind:     global_buffer
      - .actual_access:  read_only
        .address_space:  global
        .offset:         32
        .size:           8
        .value_kind:     global_buffer
      - .offset:         40
        .size:           8
        .value_kind:     by_value
      - .actual_access:  read_only
        .address_space:  global
        .offset:         48
        .size:           8
        .value_kind:     global_buffer
      - .actual_access:  read_only
        .address_space:  global
        .offset:         56
        .size:           8
        .value_kind:     global_buffer
      - .offset:         64
        .size:           4
        .value_kind:     by_value
      - .actual_access:  read_only
        .address_space:  global
        .offset:         72
        .size:           8
        .value_kind:     global_buffer
      - .actual_access:  read_only
        .address_space:  global
        .offset:         80
        .size:           8
        .value_kind:     global_buffer
      - .address_space:  global
        .offset:         88
        .size:           8
        .value_kind:     global_buffer
    .group_segment_fixed_size: 0
    .kernarg_segment_align: 8
    .kernarg_segment_size: 96
    .language:       OpenCL C
    .language_version:
      - 2
      - 0
    .max_flat_workgroup_size: 576
    .name:           fft_rtc_fwd_len108_factors_6_6_3_wgs_576_tpt_36_sp_ip_CI_sbcc_twdbase8_3step_dirReg
    .private_segment_fixed_size: 0
    .sgpr_count:     53
    .sgpr_spill_count: 0
    .symbol:         fft_rtc_fwd_len108_factors_6_6_3_wgs_576_tpt_36_sp_ip_CI_sbcc_twdbase8_3step_dirReg.kd
    .uniform_work_group_size: 1
    .uses_dynamic_stack: false
    .vgpr_count:     40
    .vgpr_spill_count: 0
    .wavefront_size: 32
    .workgroup_processor_mode: 1
amdhsa.target:   amdgcn-amd-amdhsa--gfx1201
amdhsa.version:
  - 1
  - 2
...

	.end_amdgpu_metadata
